;; amdgpu-corpus repo=ROCm/rocFFT kind=compiled arch=gfx906 opt=O3
	.text
	.amdgcn_target "amdgcn-amd-amdhsa--gfx906"
	.amdhsa_code_object_version 6
	.protected	fft_rtc_back_len847_factors_11_7_11_wgs_231_tpt_77_halfLds_half_op_CI_CI_unitstride_sbrr_dirReg ; -- Begin function fft_rtc_back_len847_factors_11_7_11_wgs_231_tpt_77_halfLds_half_op_CI_CI_unitstride_sbrr_dirReg
	.globl	fft_rtc_back_len847_factors_11_7_11_wgs_231_tpt_77_halfLds_half_op_CI_CI_unitstride_sbrr_dirReg
	.p2align	8
	.type	fft_rtc_back_len847_factors_11_7_11_wgs_231_tpt_77_halfLds_half_op_CI_CI_unitstride_sbrr_dirReg,@function
fft_rtc_back_len847_factors_11_7_11_wgs_231_tpt_77_halfLds_half_op_CI_CI_unitstride_sbrr_dirReg: ; @fft_rtc_back_len847_factors_11_7_11_wgs_231_tpt_77_halfLds_half_op_CI_CI_unitstride_sbrr_dirReg
; %bb.0:
	v_mul_u32_u24_e32 v1, 0x354, v0
	s_load_dwordx4 s[8:11], s[4:5], 0x58
	s_load_dwordx4 s[12:15], s[4:5], 0x0
	;; [unrolled: 1-line block ×3, first 2 shown]
	v_lshrrev_b32_e32 v1, 16, v1
	v_mad_u64_u32 v[9:10], s[0:1], s6, 3, v[1:2]
	v_mov_b32_e32 v3, 0
	s_waitcnt lgkmcnt(0)
	v_cmp_lt_u64_e64 s[0:1], s[14:15], 2
	v_mov_b32_e32 v11, 0
	v_mov_b32_e32 v10, v3
	;; [unrolled: 1-line block ×5, first 2 shown]
	s_and_b64 vcc, exec, s[0:1]
	v_mov_b32_e32 v2, v12
	v_mov_b32_e32 v6, v10
	s_cbranch_vccnz .LBB0_8
; %bb.1:
	s_load_dwordx2 s[0:1], s[4:5], 0x10
	s_add_u32 s2, s18, 8
	s_addc_u32 s3, s19, 0
	s_add_u32 s6, s16, 8
	s_addc_u32 s7, s17, 0
	v_mov_b32_e32 v11, 0
	s_waitcnt lgkmcnt(0)
	s_add_u32 s20, s0, 8
	v_mov_b32_e32 v12, 0
	v_mov_b32_e32 v1, v11
	;; [unrolled: 1-line block ×3, first 2 shown]
	s_addc_u32 s21, s1, 0
	s_mov_b64 s[22:23], 1
	v_mov_b32_e32 v2, v12
	v_mov_b32_e32 v8, v10
.LBB0_2:                                ; =>This Inner Loop Header: Depth=1
	s_load_dwordx2 s[24:25], s[20:21], 0x0
                                        ; implicit-def: $vgpr5_vgpr6
	s_waitcnt lgkmcnt(0)
	v_or_b32_e32 v4, s25, v8
	v_cmp_ne_u64_e32 vcc, 0, v[3:4]
	s_and_saveexec_b64 s[0:1], vcc
	s_xor_b64 s[26:27], exec, s[0:1]
	s_cbranch_execz .LBB0_4
; %bb.3:                                ;   in Loop: Header=BB0_2 Depth=1
	v_cvt_f32_u32_e32 v4, s24
	v_cvt_f32_u32_e32 v5, s25
	s_sub_u32 s0, 0, s24
	s_subb_u32 s1, 0, s25
	v_mac_f32_e32 v4, 0x4f800000, v5
	v_rcp_f32_e32 v4, v4
	v_mul_f32_e32 v4, 0x5f7ffffc, v4
	v_mul_f32_e32 v5, 0x2f800000, v4
	v_trunc_f32_e32 v5, v5
	v_mac_f32_e32 v4, 0xcf800000, v5
	v_cvt_u32_f32_e32 v5, v5
	v_cvt_u32_f32_e32 v4, v4
	v_mul_lo_u32 v6, s0, v5
	v_mul_hi_u32 v10, s0, v4
	v_mul_lo_u32 v14, s1, v4
	v_mul_lo_u32 v13, s0, v4
	v_add_u32_e32 v6, v10, v6
	v_add_u32_e32 v6, v6, v14
	v_mul_hi_u32 v10, v4, v13
	v_mul_lo_u32 v14, v4, v6
	v_mul_hi_u32 v16, v4, v6
	v_mul_hi_u32 v15, v5, v13
	v_mul_lo_u32 v13, v5, v13
	v_mul_hi_u32 v17, v5, v6
	v_add_co_u32_e32 v10, vcc, v10, v14
	v_addc_co_u32_e32 v14, vcc, 0, v16, vcc
	v_mul_lo_u32 v6, v5, v6
	v_add_co_u32_e32 v10, vcc, v10, v13
	v_addc_co_u32_e32 v10, vcc, v14, v15, vcc
	v_addc_co_u32_e32 v13, vcc, 0, v17, vcc
	v_add_co_u32_e32 v6, vcc, v10, v6
	v_addc_co_u32_e32 v10, vcc, 0, v13, vcc
	v_add_co_u32_e32 v4, vcc, v4, v6
	v_addc_co_u32_e32 v5, vcc, v5, v10, vcc
	v_mul_lo_u32 v6, s0, v5
	v_mul_hi_u32 v10, s0, v4
	v_mul_lo_u32 v13, s1, v4
	v_mul_lo_u32 v14, s0, v4
	v_add_u32_e32 v6, v10, v6
	v_add_u32_e32 v6, v6, v13
	v_mul_lo_u32 v15, v4, v6
	v_mul_hi_u32 v16, v4, v14
	v_mul_hi_u32 v17, v4, v6
	;; [unrolled: 1-line block ×3, first 2 shown]
	v_mul_lo_u32 v14, v5, v14
	v_mul_hi_u32 v10, v5, v6
	v_add_co_u32_e32 v15, vcc, v16, v15
	v_addc_co_u32_e32 v16, vcc, 0, v17, vcc
	v_mul_lo_u32 v6, v5, v6
	v_add_co_u32_e32 v14, vcc, v15, v14
	v_addc_co_u32_e32 v13, vcc, v16, v13, vcc
	v_addc_co_u32_e32 v10, vcc, 0, v10, vcc
	v_add_co_u32_e32 v6, vcc, v13, v6
	v_addc_co_u32_e32 v10, vcc, 0, v10, vcc
	v_add_co_u32_e32 v6, vcc, v4, v6
	v_addc_co_u32_e32 v10, vcc, v5, v10, vcc
	v_mad_u64_u32 v[4:5], s[0:1], v7, v10, 0
	v_mul_hi_u32 v13, v7, v6
	v_add_co_u32_e32 v15, vcc, v13, v4
	v_addc_co_u32_e32 v16, vcc, 0, v5, vcc
	v_mad_u64_u32 v[4:5], s[0:1], v8, v6, 0
	v_mad_u64_u32 v[13:14], s[0:1], v8, v10, 0
	v_add_co_u32_e32 v4, vcc, v15, v4
	v_addc_co_u32_e32 v4, vcc, v16, v5, vcc
	v_addc_co_u32_e32 v5, vcc, 0, v14, vcc
	v_add_co_u32_e32 v10, vcc, v4, v13
	v_addc_co_u32_e32 v6, vcc, 0, v5, vcc
	v_mul_lo_u32 v13, s25, v10
	v_mul_lo_u32 v14, s24, v6
	v_mad_u64_u32 v[4:5], s[0:1], s24, v10, 0
	v_add3_u32 v5, v5, v14, v13
	v_sub_u32_e32 v13, v8, v5
	v_mov_b32_e32 v14, s25
	v_sub_co_u32_e32 v4, vcc, v7, v4
	v_subb_co_u32_e64 v13, s[0:1], v13, v14, vcc
	v_subrev_co_u32_e64 v14, s[0:1], s24, v4
	v_subbrev_co_u32_e64 v13, s[0:1], 0, v13, s[0:1]
	v_cmp_le_u32_e64 s[0:1], s25, v13
	v_cndmask_b32_e64 v15, 0, -1, s[0:1]
	v_cmp_le_u32_e64 s[0:1], s24, v14
	v_cndmask_b32_e64 v14, 0, -1, s[0:1]
	v_cmp_eq_u32_e64 s[0:1], s25, v13
	v_cndmask_b32_e64 v13, v15, v14, s[0:1]
	v_add_co_u32_e64 v14, s[0:1], 2, v10
	v_addc_co_u32_e64 v15, s[0:1], 0, v6, s[0:1]
	v_add_co_u32_e64 v16, s[0:1], 1, v10
	v_addc_co_u32_e64 v17, s[0:1], 0, v6, s[0:1]
	v_subb_co_u32_e32 v5, vcc, v8, v5, vcc
	v_cmp_ne_u32_e64 s[0:1], 0, v13
	v_cmp_le_u32_e32 vcc, s25, v5
	v_cndmask_b32_e64 v13, v17, v15, s[0:1]
	v_cndmask_b32_e64 v15, 0, -1, vcc
	v_cmp_le_u32_e32 vcc, s24, v4
	v_cndmask_b32_e64 v4, 0, -1, vcc
	v_cmp_eq_u32_e32 vcc, s25, v5
	v_cndmask_b32_e32 v4, v15, v4, vcc
	v_cmp_ne_u32_e32 vcc, 0, v4
	v_cndmask_b32_e64 v4, v16, v14, s[0:1]
	v_cndmask_b32_e32 v6, v6, v13, vcc
	v_cndmask_b32_e32 v5, v10, v4, vcc
.LBB0_4:                                ;   in Loop: Header=BB0_2 Depth=1
	s_andn2_saveexec_b64 s[0:1], s[26:27]
	s_cbranch_execz .LBB0_6
; %bb.5:                                ;   in Loop: Header=BB0_2 Depth=1
	v_cvt_f32_u32_e32 v4, s24
	s_sub_i32 s26, 0, s24
	v_rcp_iflag_f32_e32 v4, v4
	v_mul_f32_e32 v4, 0x4f7ffffe, v4
	v_cvt_u32_f32_e32 v4, v4
	v_mul_lo_u32 v5, s26, v4
	v_mul_hi_u32 v5, v4, v5
	v_add_u32_e32 v4, v4, v5
	v_mul_hi_u32 v4, v7, v4
	v_mul_lo_u32 v5, v4, s24
	v_add_u32_e32 v6, 1, v4
	v_sub_u32_e32 v5, v7, v5
	v_subrev_u32_e32 v10, s24, v5
	v_cmp_le_u32_e32 vcc, s24, v5
	v_cndmask_b32_e32 v5, v5, v10, vcc
	v_cndmask_b32_e32 v4, v4, v6, vcc
	v_add_u32_e32 v6, 1, v4
	v_cmp_le_u32_e32 vcc, s24, v5
	v_cndmask_b32_e32 v5, v4, v6, vcc
	v_mov_b32_e32 v6, v3
.LBB0_6:                                ;   in Loop: Header=BB0_2 Depth=1
	s_or_b64 exec, exec, s[0:1]
	v_mul_lo_u32 v4, v6, s24
	v_mul_lo_u32 v10, v5, s25
	v_mad_u64_u32 v[13:14], s[0:1], v5, s24, 0
	s_load_dwordx2 s[0:1], s[6:7], 0x0
	s_load_dwordx2 s[24:25], s[2:3], 0x0
	v_add3_u32 v4, v14, v10, v4
	v_sub_co_u32_e32 v7, vcc, v7, v13
	v_subb_co_u32_e32 v4, vcc, v8, v4, vcc
	s_waitcnt lgkmcnt(0)
	v_mul_lo_u32 v8, s0, v4
	v_mul_lo_u32 v10, s1, v7
	v_mad_u64_u32 v[11:12], s[0:1], s0, v7, v[11:12]
	s_add_u32 s22, s22, 1
	s_addc_u32 s23, s23, 0
	s_add_u32 s2, s2, 8
	v_mul_lo_u32 v4, s24, v4
	v_mul_lo_u32 v13, s25, v7
	v_mad_u64_u32 v[1:2], s[0:1], s24, v7, v[1:2]
	v_add3_u32 v12, v10, v12, v8
	s_addc_u32 s3, s3, 0
	v_mov_b32_e32 v7, s14
	s_add_u32 s6, s6, 8
	v_mov_b32_e32 v8, s15
	s_addc_u32 s7, s7, 0
	v_cmp_ge_u64_e32 vcc, s[22:23], v[7:8]
	s_add_u32 s20, s20, 8
	v_add3_u32 v2, v13, v2, v4
	s_addc_u32 s21, s21, 0
	s_cbranch_vccnz .LBB0_8
; %bb.7:                                ;   in Loop: Header=BB0_2 Depth=1
	v_mov_b32_e32 v8, v6
	v_mov_b32_e32 v7, v5
	s_branch .LBB0_2
.LBB0_8:
	s_load_dwordx2 s[0:1], s[4:5], 0x28
	s_lshl_b64 s[6:7], s[14:15], 3
	s_add_u32 s2, s18, s6
	s_addc_u32 s3, s19, s7
                                        ; implicit-def: $sgpr18
                                        ; implicit-def: $sgpr14_sgpr15
                                        ; implicit-def: $vgpr7
	s_waitcnt lgkmcnt(0)
	v_cmp_gt_u64_e32 vcc, s[0:1], v[5:6]
	v_cmp_le_u64_e64 s[0:1], s[0:1], v[5:6]
	s_and_saveexec_b64 s[4:5], s[0:1]
	s_xor_b64 s[0:1], exec, s[4:5]
; %bb.9:
	s_mov_b32 s4, 0x3531ded
	v_mul_hi_u32 v3, v0, s4
	s_mov_b64 s[14:15], 0
	s_mov_b32 s18, 0
                                        ; implicit-def: $vgpr11_vgpr12
	v_mul_u32_u24_e32 v3, 0x4d, v3
	v_sub_u32_e32 v7, v0, v3
                                        ; implicit-def: $vgpr0
; %bb.10:
	s_or_saveexec_b64 s[4:5], s[0:1]
	v_mov_b32_e32 v3, s14
	v_mov_b32_e32 v10, s18
	;; [unrolled: 1-line block ×3, first 2 shown]
                                        ; implicit-def: $vgpr39
                                        ; implicit-def: $vgpr14
                                        ; implicit-def: $vgpr36
                                        ; implicit-def: $vgpr15
                                        ; implicit-def: $vgpr35
                                        ; implicit-def: $vgpr17
                                        ; implicit-def: $vgpr34
                                        ; implicit-def: $vgpr18
                                        ; implicit-def: $vgpr32
                                        ; implicit-def: $vgpr19
                                        ; implicit-def: $vgpr37
                                        ; implicit-def: $vgpr24
                                        ; implicit-def: $vgpr41
                                        ; implicit-def: $vgpr33
                                        ; implicit-def: $vgpr43
                                        ; implicit-def: $vgpr40
                                        ; implicit-def: $vgpr44
                                        ; implicit-def: $vgpr42
                                        ; implicit-def: $vgpr38
                                        ; implicit-def: $vgpr29
	s_xor_b64 exec, exec, s[4:5]
	s_cbranch_execz .LBB0_12
; %bb.11:
	s_add_u32 s0, s16, s6
	s_addc_u32 s1, s17, s7
	s_load_dwordx2 s[0:1], s[0:1], 0x0
	s_mov_b32 s6, 0x3531ded
	v_mul_hi_u32 v7, v0, s6
	s_waitcnt lgkmcnt(0)
	v_mul_lo_u32 v8, s1, v5
	v_mul_lo_u32 v10, s0, v6
	v_mad_u64_u32 v[3:4], s[0:1], s0, v5, 0
	v_mul_u32_u24_e32 v7, 0x4d, v7
	v_sub_u32_e32 v7, v0, v7
	v_add3_u32 v4, v4, v10, v8
	v_lshlrev_b64 v[3:4], 2, v[3:4]
	v_mov_b32_e32 v0, s9
	v_add_co_u32_e64 v8, s[0:1], s8, v3
	v_addc_co_u32_e64 v0, s[0:1], v0, v4, s[0:1]
	v_lshlrev_b64 v[3:4], 2, v[11:12]
	v_add_co_u32_e64 v3, s[0:1], v8, v3
	v_addc_co_u32_e64 v0, s[0:1], v0, v4, s[0:1]
	v_lshlrev_b32_e32 v4, 2, v7
	v_add_co_u32_e64 v3, s[0:1], v3, v4
	v_addc_co_u32_e64 v4, s[0:1], 0, v0, s[0:1]
	global_load_dword v14, v[3:4], off offset:308
	global_load_dword v15, v[3:4], off offset:616
	;; [unrolled: 1-line block ×10, first 2 shown]
	global_load_dword v10, v[3:4], off
	v_mov_b32_e32 v8, 0
	v_mov_b32_e32 v3, v7
	;; [unrolled: 1-line block ×3, first 2 shown]
	s_waitcnt vmcnt(10)
	v_lshrrev_b32_e32 v39, 16, v14
	s_waitcnt vmcnt(9)
	v_lshrrev_b32_e32 v36, 16, v15
	;; [unrolled: 2-line block ×10, first 2 shown]
.LBB0_12:
	s_or_b64 exec, exec, s[4:5]
	s_mov_b32 s0, 0xaaaaaaab
	v_mul_hi_u32 v0, v9, s0
	v_add_f16_e32 v13, v14, v42
	v_sub_f16_e32 v8, v39, v44
	v_mul_f16_e32 v11, 0xbbad, v13
	v_lshrrev_b32_e32 v0, 1, v0
	v_lshl_add_u32 v0, v0, 1, v0
	s_mov_b32 s0, 0xb482
	v_add_f16_e32 v16, v15, v40
	v_sub_u32_e32 v0, v9, v0
	v_fma_f16 v9, v8, s0, v11
	s_movk_i32 s0, 0x3853
	v_sub_f16_e32 v12, v36, v43
	v_mul_f16_e32 v20, 0x3abb, v16
	s_waitcnt vmcnt(0)
	v_add_f16_e32 v9, v9, v10
	v_fma_f16 v21, v12, s0, v20
	v_add_f16_e32 v25, v17, v33
	v_add_f16_e32 v9, v21, v9
	s_mov_b32 s0, 0xba0c
	v_sub_f16_e32 v21, v35, v41
	v_mul_f16_e32 v22, 0xb93d, v25
	v_fma_f16 v23, v21, s0, v22
	v_add_f16_e32 v26, v18, v24
	v_add_f16_e32 v9, v23, v9
	s_movk_i32 s0, 0x3b47
	v_sub_f16_e32 v23, v34, v37
	v_mul_f16_e32 v27, 0x36a6, v26
	v_fma_f16 v28, v23, s0, v27
	v_add_f16_e32 v9, v28, v9
	v_add_f16_e32 v28, v19, v29
	s_mov_b32 s0, 0xbbeb
	v_sub_f16_e32 v30, v32, v38
	v_mul_f16_e32 v31, 0xb08e, v28
	v_fma_f16 v45, v30, s0, v31
	s_mov_b32 s18, 0xbb47b853
	v_add_f16_e32 v9, v45, v9
	s_mov_b32 s6, 0x36a63abb
	v_pk_mul_f16 v45, v8, s18 op_sel_hi:[0,1]
	s_mov_b32 s21, 0xba0cbb47
	v_pk_fma_f16 v46, v13, s6, v45 op_sel_hi:[0,1,1]
	s_mov_b32 s7, 0xb93d36a6
	v_pk_mul_f16 v47, v12, s21 op_sel_hi:[0,1]
	v_pk_add_f16 v46, v46, v10 op_sel_hi:[1,0]
	v_pk_fma_f16 v48, v16, s7, v47 op_sel_hi:[0,1,1]
	s_mov_b32 s23, 0x3482bbeb
	v_pk_add_f16 v46, v48, v46
	s_mov_b32 s8, 0xbbadb08e
	v_pk_mul_f16 v48, v21, s23 op_sel_hi:[0,1]
	v_pk_fma_f16 v49, v25, s8, v48 op_sel_hi:[0,1,1]
	s_mov_b32 s25, 0x3bebba0c
	v_pk_add_f16 v46, v49, v46
	s_mov_b32 s9, 0xb08eb93d
	v_pk_mul_f16 v49, v23, s25 op_sel_hi:[0,1]
	;; [unrolled: 5-line block ×4, first 2 shown]
	s_mov_b32 s17, 0xb08ebbad
	v_pk_fma_f16 v52, v8, s19, v51 op_sel_hi:[0,1,1]
	s_mov_b32 s22, 0x3beb3482
	v_pk_mul_f16 v53, v16, s17 op_sel_hi:[0,1]
	v_pk_add_f16 v52, v52, v10 op_sel_hi:[1,0]
	v_pk_fma_f16 v54, v12, s22, v53 op_sel_hi:[0,1,1]
	s_mov_b32 s20, 0x3abb36a6
	v_pk_add_f16 v52, v54, v52
	s_mov_b32 s26, 0xb8533b47
	v_pk_mul_f16 v54, v25, s20 op_sel_hi:[0,1]
	v_pk_fma_f16 v55, v21, s26, v54 op_sel_hi:[0,1,1]
	s_mov_b32 s24, 0xbbad3abb
	v_pk_add_f16 v52, v55, v52
	s_mov_b32 s28, 0xb482b853
	v_pk_mul_f16 v55, v26, s24 op_sel_hi:[0,1]
	;; [unrolled: 5-line block ×3, first 2 shown]
	v_pk_fma_f16 v57, v30, s30, v56 op_sel_hi:[0,1,1]
	v_pk_add_f16 v52, v57, v52
	v_mul_f16_e32 v57, 0xb482, v8
	v_pk_mul_f16 v58, v8, s19 op_sel_hi:[0,1]
	s_mov_b32 s15, 0xffff
	v_bfi_b32 v8, s15, v11, v51
	v_bfi_b32 v11, s15, v57, v58
	v_pk_add_f16 v8, v8, v11 neg_lo:[0,1] neg_hi:[0,1]
	v_mul_f16_e32 v11, 0x3853, v12
	v_pk_mul_f16 v57, v12, s22 op_sel_hi:[0,1]
	v_bfi_b32 v12, s15, v20, v53
	v_bfi_b32 v11, s15, v11, v57
	v_pk_add_f16 v11, v12, v11 neg_lo:[0,1] neg_hi:[0,1]
	v_pk_add_f16 v8, v8, v10 op_sel_hi:[1,0]
	v_pk_add_f16 v8, v11, v8
	v_mul_f16_e32 v11, 0xba0c, v21
	v_pk_mul_f16 v59, v21, s26 op_sel_hi:[0,1]
	v_bfi_b32 v12, s15, v22, v54
	v_bfi_b32 v11, s15, v11, v59
	v_pk_add_f16 v11, v12, v11 neg_lo:[0,1] neg_hi:[0,1]
	v_pk_add_f16 v8, v11, v8
	v_mul_f16_e32 v11, 0x3b47, v23
	v_pk_mul_f16 v60, v23, s28 op_sel_hi:[0,1]
	v_bfi_b32 v12, s15, v27, v55
	v_bfi_b32 v11, s15, v11, v60
	v_pk_add_f16 v11, v12, v11 neg_lo:[0,1] neg_hi:[0,1]
	;; [unrolled: 6-line block ×3, first 2 shown]
	v_pk_add_f16 v23, v11, v8
	v_add_f16_e32 v8, v14, v10
	v_add_f16_e32 v8, v15, v8
	;; [unrolled: 1-line block ×8, first 2 shown]
	v_alignbit_b32 v22, v9, v52, 16
	v_add_f16_e32 v8, v40, v8
	v_mul_u32_u24_e32 v9, 0x34f, v0
	v_add_f16_e32 v8, v42, v8
	v_lshl_add_u32 v0, v9, 1, 0
	v_pk_fma_f16 v13, v13, s6, v45 op_sel_hi:[0,1,1] neg_lo:[0,0,1] neg_hi:[0,0,1]
	v_alignbit_b32 v21, v52, v46, 16
	v_pack_b32_f16 v20, v8, v46
	v_mad_u32_u24 v12, v7, 22, v0
	v_sub_f16_e32 v11, v51, v58
	v_pk_fma_f16 v16, v16, s7, v47 op_sel_hi:[0,1,1] neg_lo:[0,0,1] neg_hi:[0,0,1]
	v_pk_add_f16 v13, v13, v10 op_sel_hi:[1,0]
	ds_write_b128 v12, v[20:23]
	v_sub_f16_e32 v20, v53, v57
	v_add_f16_e32 v11, v11, v10
	v_pk_add_f16 v13, v16, v13
	v_pk_fma_f16 v16, v25, s8, v48 op_sel_hi:[0,1,1] neg_lo:[0,0,1] neg_hi:[0,0,1]
	v_add_f16_e32 v11, v20, v11
	v_sub_f16_e32 v20, v54, v59
	v_pk_add_f16 v13, v16, v13
	v_pk_fma_f16 v16, v26, s9, v49 op_sel_hi:[0,1,1] neg_lo:[0,0,1] neg_hi:[0,0,1]
	v_add_f16_e32 v11, v20, v11
	v_sub_f16_e32 v20, v55, v60
	;; [unrolled: 4-line block ×3, first 2 shown]
	v_pk_add_f16 v16, v16, v13
	v_add_f16_e32 v11, v20, v11
	v_alignbit_b32 v13, v16, v16, 16
	v_lshl_add_u32 v0, v7, 1, v0
	s_movk_i32 s0, 0xffec
	v_lshrrev_b32_e32 v8, 16, v23
	ds_write_b32 v12, v13 offset:18
	s_load_dwordx2 s[2:3], s[2:3], 0x0
	ds_write_b16 v12, v11 offset:16
	s_waitcnt lgkmcnt(0)
	s_barrier
	v_mad_i32_i24 v45, v7, s0, v12
	ds_read_u16 v13, v0
	ds_read_u16 v28, v45 offset:242
	ds_read_u16 v26, v45 offset:484
	;; [unrolled: 1-line block ×6, first 2 shown]
	s_mov_b32 s35, 0xbbad
	s_movk_i32 s34, 0x3abb
	s_mov_b32 s33, 0xb93d
	s_movk_i32 s36, 0x36a6
	s_mov_b32 s31, 0xb08e
	v_cmp_gt_u32_e64 s[0:1], 44, v7
	v_lshrrev_b32_e32 v25, 16, v16
                                        ; implicit-def: $vgpr30
                                        ; implicit-def: $vgpr27
                                        ; implicit-def: $vgpr31
	s_and_saveexec_b64 s[4:5], s[0:1]
	s_cbranch_execz .LBB0_14
; %bb.13:
	ds_read_u16 v8, v45 offset:154
	ds_read_u16 v11, v45 offset:396
	;; [unrolled: 1-line block ×7, first 2 shown]
.LBB0_14:
	s_or_b64 exec, exec, s[4:5]
	v_add_f16_sdwa v46, v39, v10 dst_sel:DWORD dst_unused:UNUSED_PAD src0_sel:DWORD src1_sel:WORD_1
	v_add_f16_e32 v46, v36, v46
	v_add_f16_e32 v46, v35, v46
	v_add_f16_e32 v46, v34, v46
	v_add_f16_e32 v46, v32, v46
	v_add_f16_e32 v46, v38, v46
	v_add_f16_e32 v46, v37, v46
	v_add_f16_e32 v46, v41, v46
	v_add_f16_e32 v46, v43, v46
	v_sub_f16_e32 v14, v14, v42
	v_add_f16_e32 v46, v44, v46
	v_add_f16_e32 v39, v39, v44
	v_mul_f16_e32 v44, 0xb482, v14
	v_sub_f16_e32 v15, v15, v40
	v_fma_f16 v47, v39, s35, -v44
	v_add_f16_e32 v36, v36, v43
	v_mul_f16_e32 v43, 0x3853, v15
	v_add_f16_sdwa v47, v47, v10 dst_sel:DWORD dst_unused:UNUSED_PAD src0_sel:DWORD src1_sel:WORD_1
	v_fma_f16 v48, v36, s34, -v43
	v_sub_f16_e32 v33, v17, v33
	v_add_f16_e32 v47, v48, v47
	v_add_f16_e32 v35, v35, v41
	v_mul_f16_e32 v48, 0xba0c, v33
	v_sub_f16_e32 v18, v18, v24
	v_fma_f16 v17, v35, s33, -v48
	v_add_f16_e32 v34, v34, v37
	v_mul_f16_e32 v37, 0x3b47, v18
	v_add_f16_e32 v17, v17, v47
	v_fma_f16 v47, v34, s36, -v37
	v_add_f16_e32 v47, v47, v17
	v_pk_mul_f16 v17, v14, s18 op_sel_hi:[0,1]
	v_add_f16_e32 v32, v32, v38
	v_sub_f16_e32 v19, v19, v29
	v_pk_fma_f16 v29, v39, s6, v17 op_sel_hi:[0,1,1] neg_lo:[0,0,1] neg_hi:[0,0,1]
	v_pk_mul_f16 v38, v15, s21 op_sel_hi:[0,1]
	v_pk_add_f16 v29, v29, v10 op_sel:[0,1]
	v_pk_fma_f16 v49, v36, s7, v38 op_sel_hi:[0,1,1] neg_lo:[0,0,1] neg_hi:[0,0,1]
	v_pk_add_f16 v29, v49, v29
	v_pk_mul_f16 v49, v33, s23 op_sel_hi:[0,1]
	v_pk_fma_f16 v50, v35, s8, v49 op_sel_hi:[0,1,1] neg_lo:[0,0,1] neg_hi:[0,0,1]
	v_pk_fma_f16 v17, v39, s6, v17 op_sel_hi:[0,1,1]
	v_pk_add_f16 v29, v50, v29
	v_pk_mul_f16 v50, v18, s25 op_sel_hi:[0,1]
	v_pk_add_f16 v17, v17, v10 op_sel:[0,1]
	v_pk_fma_f16 v38, v36, s7, v38 op_sel_hi:[0,1,1]
	v_pk_fma_f16 v51, v34, s9, v50 op_sel_hi:[0,1,1] neg_lo:[0,0,1] neg_hi:[0,0,1]
	v_pk_add_f16 v17, v38, v17
	v_pk_fma_f16 v38, v35, s8, v49 op_sel_hi:[0,1,1]
	v_pk_add_f16 v29, v51, v29
	v_pk_mul_f16 v51, v19, s27 op_sel_hi:[0,1]
	v_pk_add_f16 v17, v38, v17
	v_pk_fma_f16 v38, v34, s9, v50 op_sel_hi:[0,1,1]
	v_pk_add_f16 v17, v38, v17
	v_pk_fma_f16 v38, v32, s16, v51 op_sel_hi:[0,1,1]
	v_pk_mul_f16 v14, v14, s19 op_sel_hi:[0,1]
	v_mul_f16_e32 v42, 0xbbad, v39
	v_pk_add_f16 v17, v38, v17
	v_pk_mul_f16 v38, v39, s14 op_sel_hi:[0,1]
	v_pk_fma_f16 v39, v39, s14, v14 op_sel_hi:[0,1,1] neg_lo:[0,0,1] neg_hi:[0,0,1]
	v_pk_mul_f16 v15, v15, s22 op_sel_hi:[0,1]
	v_mul_f16_e32 v40, 0x3abb, v36
	v_add_f16_e32 v49, v38, v14
	v_pk_add_f16 v39, v39, v10 op_sel:[0,1]
	v_pk_mul_f16 v50, v36, s17 op_sel_hi:[0,1]
	v_pk_fma_f16 v36, v36, s17, v15 op_sel_hi:[0,1,1] neg_lo:[0,0,1] neg_hi:[0,0,1]
	v_bfi_b32 v38, s15, v42, v38
	v_bfi_b32 v14, s15, v44, v14
	v_pk_fma_f16 v52, v32, s16, v51 op_sel_hi:[0,1,1] neg_lo:[0,0,1] neg_hi:[0,0,1]
	v_add_f16_sdwa v49, v49, v10 dst_sel:DWORD dst_unused:UNUSED_PAD src0_sel:DWORD src1_sel:WORD_1
	v_add_f16_e32 v51, v50, v15
	v_pk_add_f16 v36, v36, v39
	v_pk_mul_f16 v39, v35, s20 op_sel_hi:[0,1]
	v_pk_mul_f16 v33, v33, s26 op_sel_hi:[0,1]
	v_pk_add_f16 v14, v38, v14
	v_mul_f16_e32 v41, 0xb93d, v35
	v_add_f16_e32 v49, v51, v49
	v_add_f16_e32 v51, v39, v33
	v_pk_fma_f16 v35, v35, s20, v33 op_sel_hi:[0,1,1] neg_lo:[0,0,1] neg_hi:[0,0,1]
	v_pk_add_f16 v10, v14, v10 op_sel:[0,1]
	v_bfi_b32 v14, s15, v40, v50
	v_bfi_b32 v15, s15, v43, v15
	v_add_f16_e32 v49, v51, v49
	v_pk_add_f16 v35, v35, v36
	v_pk_mul_f16 v36, v34, s24 op_sel_hi:[0,1]
	v_pk_mul_f16 v51, v18, s28 op_sel_hi:[0,1]
	v_pk_add_f16 v14, v14, v15
	v_add_f16_e32 v18, v36, v51
	v_pk_add_f16 v10, v14, v10
	v_bfi_b32 v14, s15, v41, v39
	v_bfi_b32 v15, s15, v48, v33
	v_mul_f16_e32 v24, 0x36a6, v34
	v_add_f16_e32 v18, v18, v49
	v_pk_fma_f16 v34, v34, s24, v51 op_sel_hi:[0,1,1] neg_lo:[0,0,1] neg_hi:[0,0,1]
	v_pk_mul_f16 v49, v19, s30 op_sel_hi:[0,1]
	v_pk_add_f16 v14, v14, v15
	v_pk_add_f16 v29, v52, v29
	;; [unrolled: 1-line block ×3, first 2 shown]
	v_pk_fma_f16 v52, v32, s29, v49 op_sel_hi:[0,1,1] neg_lo:[0,0,1] neg_hi:[0,0,1]
	v_pk_add_f16 v10, v14, v10
	v_bfi_b32 v14, s15, v24, v36
	v_bfi_b32 v15, s15, v37, v51
	v_pk_mul_f16 v35, v32, s29 op_sel_hi:[0,1]
	v_pk_add_f16 v34, v52, v34
	v_mul_f16_e32 v52, 0xb08e, v32
	v_mul_f16_e32 v19, 0xbbeb, v19
	v_pk_add_f16 v14, v14, v15
	v_fma_f16 v32, v32, s31, -v19
	v_pk_add_f16 v10, v14, v10
	v_bfi_b32 v14, s15, v52, v35
	v_bfi_b32 v15, s15, v19, v49
	v_add_f16_e32 v32, v32, v47
	v_pk_add_f16 v14, v14, v15
	v_add_f16_e32 v53, v35, v49
	v_pk_add_f16 v36, v14, v10
	v_alignbit_b32 v35, v32, v34, 16
	v_alignbit_b32 v34, v34, v29, 16
	v_pack_b32_f16 v33, v46, v29
	v_alignbit_b32 v10, v17, v17, 16
	v_add_f16_e32 v18, v53, v18
	s_waitcnt lgkmcnt(0)
	s_barrier
	ds_write_b128 v12, v[33:36]
	ds_write_b16 v12, v18 offset:16
	ds_write_b32 v12, v10 offset:18
	s_waitcnt lgkmcnt(0)
	s_barrier
	ds_read_u16 v12, v0
	ds_read_u16 v38, v45 offset:242
	ds_read_u16 v37, v45 offset:484
	;; [unrolled: 1-line block ×6, first 2 shown]
	v_lshrrev_b32_e32 v10, 16, v36
	v_lshrrev_b32_e32 v29, 16, v17
                                        ; implicit-def: $vgpr34
                                        ; implicit-def: $vgpr32
                                        ; implicit-def: $vgpr36
	s_and_saveexec_b64 s[4:5], s[0:1]
	s_cbranch_execz .LBB0_16
; %bb.15:
	ds_read_u16 v10, v45 offset:154
	ds_read_u16 v18, v45 offset:396
	;; [unrolled: 1-line block ×7, first 2 shown]
.LBB0_16:
	s_or_b64 exec, exec, s[4:5]
	s_movk_i32 s4, 0x75
	v_mul_lo_u16_sdwa v14, v7, s4 dst_sel:DWORD dst_unused:UNUSED_PAD src0_sel:BYTE_0 src1_sel:DWORD
	v_sub_u16_sdwa v15, v7, v14 dst_sel:DWORD dst_unused:UNUSED_PAD src0_sel:DWORD src1_sel:BYTE_1
	v_lshrrev_b16_e32 v15, 1, v15
	v_and_b32_e32 v15, 0x7f, v15
	v_add_u16_sdwa v14, v15, v14 dst_sel:DWORD dst_unused:UNUSED_PAD src0_sel:DWORD src1_sel:BYTE_1
	v_lshrrev_b16_e32 v52, 3, v14
	v_mul_lo_u16_e32 v14, 11, v52
	v_sub_u16_e32 v53, v7, v14
	v_mov_b32_e32 v43, 6
	v_mul_u32_u24_sdwa v14, v53, v43 dst_sel:DWORD dst_unused:UNUSED_PAD src0_sel:BYTE_0 src1_sel:DWORD
	v_lshlrev_b32_e32 v14, 2, v14
	v_add_u16_e32 v15, 0x4d, v7
	global_load_dwordx4 v[39:42], v14, s[12:13]
	global_load_dwordx2 v[44:45], v14, s[12:13] offset:16
	v_mul_lo_u16_sdwa v14, v15, s4 dst_sel:DWORD dst_unused:UNUSED_PAD src0_sel:BYTE_0 src1_sel:DWORD
	v_sub_u16_sdwa v46, v15, v14 dst_sel:DWORD dst_unused:UNUSED_PAD src0_sel:DWORD src1_sel:BYTE_1
	v_lshrrev_b16_e32 v46, 1, v46
	v_and_b32_e32 v46, 0x7f, v46
	v_add_u16_sdwa v14, v46, v14 dst_sel:DWORD dst_unused:UNUSED_PAD src0_sel:DWORD src1_sel:BYTE_1
	v_lshrrev_b16_e32 v14, 3, v14
	v_mul_lo_u16_e32 v46, 11, v14
	v_sub_u16_e32 v15, v15, v46
	v_mul_u32_u24_sdwa v43, v15, v43 dst_sel:DWORD dst_unused:UNUSED_PAD src0_sel:BYTE_0 src1_sel:DWORD
	v_lshlrev_b32_e32 v43, 2, v43
	global_load_dwordx4 v[46:49], v43, s[12:13]
	global_load_dwordx2 v[50:51], v43, s[12:13] offset:16
	s_movk_i32 s6, 0x2b26
	s_mov_b32 s8, 0xbcab
	s_mov_b32 s14, 0xb9e0
	s_movk_i32 s17, 0x3574
	s_mov_b32 s7, 0xbb00
	s_movk_i32 s9, 0x39e0
	s_mov_b32 s15, 0xb574
	s_mov_b32 s16, 0xb70e
	s_movk_i32 s18, 0x9a
	s_waitcnt vmcnt(0) lgkmcnt(0)
	s_barrier
	v_mul_f16_sdwa v43, v38, v39 dst_sel:DWORD dst_unused:UNUSED_PAD src0_sel:DWORD src1_sel:WORD_1
	v_mul_f16_sdwa v54, v28, v39 dst_sel:DWORD dst_unused:UNUSED_PAD src0_sel:DWORD src1_sel:WORD_1
	;; [unrolled: 1-line block ×16, first 2 shown]
	v_fma_f16 v28, v28, v39, v43
	v_fma_f16 v39, v38, v39, -v54
	v_fma_f16 v38, v26, v40, v55
	v_fma_f16 v40, v37, v40, -v56
	;; [unrolled: 2-line block ×5, first 2 shown]
	v_fma_f16 v44, v20, v45, v63
	v_mul_f16_sdwa v65, v18, v46 dst_sel:DWORD dst_unused:UNUSED_PAD src0_sel:DWORD src1_sel:WORD_1
	v_mul_f16_sdwa v68, v25, v47 dst_sel:DWORD dst_unused:UNUSED_PAD src0_sel:DWORD src1_sel:WORD_1
	;; [unrolled: 1-line block ×6, first 2 shown]
	v_fma_f16 v45, v19, v45, -v64
	v_fma_f16 v19, v18, v46, -v66
	v_fma_f16 v18, v25, v47, v67
	v_fma_f16 v21, v30, v49, v71
	;; [unrolled: 1-line block ×3, first 2 shown]
	v_add_f16_e32 v27, v28, v44
	v_add_f16_e32 v30, v38, v42
	v_mul_f16_sdwa v69, v17, v48 dst_sel:DWORD dst_unused:UNUSED_PAD src0_sel:DWORD src1_sel:WORD_1
	v_mul_f16_sdwa v70, v16, v48 dst_sel:DWORD dst_unused:UNUSED_PAD src0_sel:DWORD src1_sel:WORD_1
	v_fma_f16 v20, v29, v47, -v68
	v_fma_f16 v22, v34, v49, -v72
	v_fma_f16 v23, v31, v50, v73
	v_fma_f16 v24, v36, v50, -v74
	v_fma_f16 v26, v32, v51, -v76
	v_sub_f16_e32 v29, v39, v45
	v_sub_f16_e32 v31, v40, v43
	v_add_f16_e32 v32, v37, v41
	v_sub_f16_e32 v34, v33, v35
	v_add_f16_e32 v36, v30, v27
	v_fma_f16 v11, v11, v46, v65
	v_fma_f16 v16, v16, v48, v69
	v_fma_f16 v17, v17, v48, -v70
	v_sub_f16_e32 v46, v30, v27
	v_sub_f16_e32 v27, v27, v32
	;; [unrolled: 1-line block ×3, first 2 shown]
	v_add_f16_e32 v47, v34, v31
	v_sub_f16_e32 v48, v34, v31
	v_sub_f16_e32 v31, v31, v29
	v_add_f16_e32 v32, v32, v36
	v_sub_f16_e32 v34, v29, v34
	v_add_f16_e32 v29, v47, v29
	v_mul_f16_e32 v27, 0x3a52, v27
	v_mul_f16_e32 v47, 0x3846, v48
	v_add_f16_e32 v48, v13, v32
	v_mul_f16_e32 v13, 0xbb00, v31
	v_mul_f16_e32 v36, 0x2b26, v30
	v_fma_f16 v32, v32, s8, v48
	v_fma_f16 v30, v30, s6, v27
	v_fma_f16 v27, v46, s14, -v27
	v_fma_f16 v13, v34, s17, -v13
	;; [unrolled: 1-line block ×3, first 2 shown]
	v_fma_f16 v46, v34, s15, v47
	v_fma_f16 v31, v31, s7, -v47
	v_add_f16_e32 v27, v27, v32
	v_fma_f16 v13, v29, s16, v13
	v_add_f16_e32 v30, v30, v32
	v_add_f16_e32 v34, v36, v32
	v_fma_f16 v32, v29, s16, v46
	v_fma_f16 v31, v29, s16, v31
	v_add_f16_e32 v47, v13, v27
	v_sub_f16_e32 v27, v27, v13
	v_mov_b32_e32 v13, 1
	v_add_f16_e32 v29, v32, v30
	v_sub_f16_e32 v49, v34, v31
	v_add_f16_e32 v31, v31, v34
	v_sub_f16_e32 v30, v30, v32
	v_mad_u32_u24 v32, v52, s18, 0
	v_lshlrev_b32_sdwa v34, v13, v53 dst_sel:DWORD dst_unused:UNUSED_PAD src0_sel:DWORD src1_sel:BYTE_0
	v_lshlrev_b32_e32 v36, 1, v9
	v_add3_u32 v46, v32, v34, v36
	ds_write_b16 v46, v48
	ds_write_b16 v46, v29 offset:22
	ds_write_b16 v46, v47 offset:44
	;; [unrolled: 1-line block ×6, first 2 shown]
	s_and_saveexec_b64 s[4:5], s[0:1]
	s_cbranch_execz .LBB0_18
; %bb.17:
	v_add_f16_e32 v9, v11, v25
	v_add_f16_e32 v30, v18, v23
	;; [unrolled: 1-line block ×4, first 2 shown]
	v_sub_f16_e32 v47, v22, v17
	v_sub_f16_e32 v49, v20, v24
	;; [unrolled: 1-line block ×4, first 2 shown]
	v_add_f16_e32 v27, v27, v34
	v_sub_f16_e32 v34, v19, v26
	v_sub_f16_e32 v50, v47, v49
	v_mul_f16_e32 v29, 0x3a52, v29
	v_mul_f16_e32 v32, 0x2b26, v31
	v_add_f16_e32 v8, v8, v27
	v_sub_f16_e32 v48, v34, v47
	v_mul_f16_e32 v50, 0x3846, v50
	v_add_f16_e32 v47, v47, v49
	v_sub_f16_e32 v9, v30, v9
	v_sub_f16_e32 v30, v49, v34
	v_fma_f16 v31, v31, s6, v29
	v_fma_f16 v27, v27, s8, v8
	;; [unrolled: 1-line block ×3, first 2 shown]
	v_add_f16_e32 v47, v47, v34
	v_fma_f16 v29, v9, s14, -v29
	v_mul_f16_e32 v34, 0xbb00, v30
	v_fma_f16 v30, v30, s7, -v50
	v_fma_f16 v9, v9, s9, -v32
	v_add_f16_e32 v31, v31, v27
	v_fma_f16 v51, v47, s16, v51
	v_fma_f16 v30, v47, s16, v30
	v_add_f16_e32 v9, v9, v27
	v_sub_f16_e32 v52, v31, v51
	v_add_f16_e32 v29, v29, v27
	v_fma_f16 v34, v48, s17, -v34
	v_add_f16_e32 v27, v30, v9
	v_sub_f16_e32 v9, v9, v30
	v_add_f16_e32 v30, v51, v31
	v_mad_u32_u24 v31, v14, s18, 0
	v_lshlrev_b32_sdwa v13, v13, v15 dst_sel:DWORD dst_unused:UNUSED_PAD src0_sel:DWORD src1_sel:BYTE_0
	v_fma_f16 v34, v47, s16, v34
	v_add3_u32 v13, v31, v13, v36
	v_sub_f16_e32 v48, v29, v34
	v_add_f16_e32 v29, v34, v29
	ds_write_b16 v13, v8
	ds_write_b16 v13, v30 offset:22
	ds_write_b16 v13, v29 offset:44
	;; [unrolled: 1-line block ×6, first 2 shown]
.LBB0_18:
	s_or_b64 exec, exec, s[4:5]
	v_add_f16_e32 v8, v39, v45
	v_add_f16_e32 v13, v40, v43
	v_sub_f16_e32 v9, v28, v44
	v_sub_f16_e32 v27, v38, v42
	v_add_f16_e32 v28, v35, v33
	v_sub_f16_e32 v29, v41, v37
	v_add_f16_e32 v30, v13, v8
	v_sub_f16_e32 v31, v13, v8
	v_sub_f16_e32 v8, v8, v28
	;; [unrolled: 1-line block ×3, first 2 shown]
	v_add_f16_e32 v32, v29, v27
	v_sub_f16_e32 v33, v29, v27
	v_sub_f16_e32 v27, v27, v9
	v_add_f16_e32 v28, v28, v30
	v_sub_f16_e32 v29, v9, v29
	v_add_f16_e32 v9, v32, v9
	v_add_f16_e32 v35, v12, v28
	v_mul_f16_e32 v8, 0x3a52, v8
	v_mul_f16_e32 v12, 0x2b26, v13
	v_mul_f16_e32 v30, 0x3846, v33
	v_mul_f16_e32 v32, 0xbb00, v27
	v_fma_f16 v28, v28, s8, v35
	v_fma_f16 v13, v13, s6, v8
	v_fma_f16 v12, v31, s9, -v12
	v_fma_f16 v8, v31, s14, -v8
	v_fma_f16 v31, v29, s15, v30
	v_fma_f16 v27, v27, s7, -v30
	v_fma_f16 v29, v29, s17, -v32
	v_add_f16_e32 v13, v13, v28
	v_add_f16_e32 v12, v12, v28
	;; [unrolled: 1-line block ×3, first 2 shown]
	v_fma_f16 v28, v9, s16, v31
	v_fma_f16 v27, v9, s16, v27
	;; [unrolled: 1-line block ×3, first 2 shown]
	v_sub_f16_e32 v38, v8, v9
	v_add_f16_e32 v41, v9, v8
	v_lshlrev_b32_e32 v8, 1, v7
	v_sub_f16_e32 v37, v13, v28
	v_add_f16_e32 v39, v27, v12
	v_sub_f16_e32 v40, v12, v27
	v_add_f16_e32 v42, v28, v13
	s_waitcnt lgkmcnt(0)
	s_barrier
	v_add3_u32 v34, 0, v8, v36
	ds_read_u16 v8, v0
	ds_read_u16 v30, v34 offset:154
	ds_read_u16 v29, v34 offset:308
	;; [unrolled: 1-line block ×10, first 2 shown]
	s_waitcnt lgkmcnt(0)
	s_barrier
	ds_write_b16 v46, v35
	ds_write_b16 v46, v37 offset:22
	ds_write_b16 v46, v38 offset:44
	;; [unrolled: 1-line block ×6, first 2 shown]
	s_and_saveexec_b64 s[4:5], s[0:1]
	s_cbranch_execz .LBB0_20
; %bb.19:
	v_add_f16_e32 v19, v19, v26
	v_add_f16_e32 v20, v20, v24
	;; [unrolled: 1-line block ×3, first 2 shown]
	v_sub_f16_e32 v16, v21, v16
	v_add_f16_e32 v21, v20, v19
	v_sub_f16_e32 v22, v20, v19
	v_sub_f16_e32 v19, v19, v17
	v_sub_f16_e32 v20, v17, v20
	v_mul_f16_e32 v19, 0x3a52, v19
	s_movk_i32 s0, 0x2b26
	v_sub_f16_e32 v18, v18, v23
	v_add_f16_e32 v17, v17, v21
	v_mul_f16_e32 v21, 0x2b26, v20
	v_fma_f16 v20, v20, s0, v19
	s_movk_i32 s0, 0x39e0
	v_sub_f16_e32 v11, v11, v25
	v_add_f16_e32 v23, v16, v18
	v_sub_f16_e32 v24, v16, v18
	v_fma_f16 v21, v22, s0, -v21
	s_mov_b32 s0, 0xb9e0
	v_sub_f16_e32 v16, v11, v16
	v_sub_f16_e32 v18, v18, v11
	v_add_f16_e32 v11, v23, v11
	v_mul_f16_e32 v23, 0x3846, v24
	v_fma_f16 v19, v22, s0, -v19
	s_mov_b32 s0, 0xb574
	v_add_f16_e32 v10, v10, v17
	s_mov_b32 s1, 0xbb00
	v_mul_f16_e32 v24, 0xbb00, v18
	s_mov_b32 s6, 0xbcab
	v_fma_f16 v22, v16, s0, v23
	s_movk_i32 s0, 0x3574
	v_fma_f16 v17, v17, s6, v10
	v_fma_f16 v18, v18, s1, -v23
	v_fma_f16 v16, v16, s0, -v24
	s_mov_b32 s0, 0xb70e
	v_add_f16_e32 v20, v20, v17
	v_add_f16_e32 v21, v21, v17
	;; [unrolled: 1-line block ×3, first 2 shown]
	v_fma_f16 v19, v11, s0, v22
	v_fma_f16 v18, v11, s0, v18
	;; [unrolled: 1-line block ×3, first 2 shown]
	v_sub_f16_e32 v16, v20, v19
	v_sub_f16_e32 v22, v17, v11
	v_add_f16_e32 v11, v11, v17
	v_add_f16_e32 v17, v19, v20
	s_movk_i32 s0, 0x9a
	v_mov_b32_e32 v19, 1
	v_mad_u32_u24 v14, v14, s0, 0
	v_lshlrev_b32_sdwa v15, v19, v15 dst_sel:DWORD dst_unused:UNUSED_PAD src0_sel:DWORD src1_sel:BYTE_0
	v_add3_u32 v14, v14, v15, v36
	v_add_f16_e32 v23, v18, v21
	v_sub_f16_e32 v18, v21, v18
	ds_write_b16 v14, v10
	ds_write_b16 v14, v16 offset:22
	ds_write_b16 v14, v22 offset:44
	;; [unrolled: 1-line block ×6, first 2 shown]
.LBB0_20:
	s_or_b64 exec, exec, s[4:5]
	s_waitcnt lgkmcnt(0)
	s_barrier
	s_and_saveexec_b64 s[0:1], vcc
	s_cbranch_execz .LBB0_22
; %bb.21:
	v_mul_u32_u24_e32 v7, 10, v7
	v_lshlrev_b32_e32 v7, 2, v7
	global_load_dwordx4 v[14:17], v7, s[12:13] offset:264
	global_load_dwordx2 v[10:11], v7, s[12:13] offset:296
	global_load_dwordx4 v[18:21], v7, s[12:13] offset:280
	v_mul_lo_u32 v7, s3, v5
	v_mul_lo_u32 v22, s2, v6
	v_mad_u64_u32 v[5:6], s[0:1], s2, v5, 0
	ds_read_u16 v23, v34 offset:462
	ds_read_u16 v24, v34 offset:616
	;; [unrolled: 1-line block ×7, first 2 shown]
	ds_read_u16 v0, v0
	ds_read_u16 v38, v34 offset:1540
	ds_read_u16 v39, v34 offset:1386
	ds_read_u16 v34, v34 offset:1232
	v_add3_u32 v6, v6, v22, v7
	s_movk_i32 s0, 0x36a6
	s_mov_b32 s1, 0xb93d
	s_mov_b32 s2, 0xbbad
	;; [unrolled: 1-line block ×3, first 2 shown]
	s_movk_i32 s4, 0x3abb
	s_movk_i32 s5, 0x3482
	s_mov_b32 s6, 0xb853
	s_movk_i32 s7, 0x3a0c
	s_movk_i32 s12, 0x3853
	s_mov_b32 s8, 0xbb47
	s_movk_i32 s13, 0x3b47
	s_movk_i32 s9, 0x3beb
	v_lshlrev_b64 v[5:6], 2, v[5:6]
	v_add_co_u32_e32 v5, vcc, s10, v5
	s_waitcnt vmcnt(2)
	v_lshrrev_b32_e32 v7, 16, v14
	v_mul_f16_e32 v42, v30, v14
	s_waitcnt vmcnt(1)
	v_lshrrev_b32_e32 v44, 16, v11
	v_mul_f16_e32 v45, v33, v11
	v_lshrrev_b32_e32 v22, 16, v15
	v_lshrrev_b32_e32 v40, 16, v16
	;; [unrolled: 1-line block ×4, first 2 shown]
	v_mul_f16_e32 v46, v29, v15
	v_mul_f16_e32 v47, v32, v10
	v_mul_f16_e32 v48, v27, v16
	s_waitcnt lgkmcnt(4)
	v_fma_f16 v42, v37, v7, v42
	s_waitcnt lgkmcnt(2)
	v_fma_f16 v45, v38, v44, v45
	v_mul_f16_e32 v33, v33, v44
	v_mul_f16_e32 v7, v30, v7
	s_waitcnt vmcnt(0)
	v_lshrrev_b32_e32 v51, 16, v20
	v_lshrrev_b32_e32 v52, 16, v21
	v_mul_f16_e32 v53, v31, v21
	v_mul_f16_e32 v54, v13, v17
	v_fma_f16 v30, v36, v22, v46
	s_waitcnt lgkmcnt(1)
	v_fma_f16 v44, v39, v43, v47
	v_mul_f16_e32 v32, v32, v43
	v_mul_f16_e32 v22, v29, v22
	v_fma_f16 v29, v23, v40, v48
	v_mul_f16_e32 v13, v13, v41
	v_sub_f16_e32 v48, v42, v45
	v_fma_f16 v11, v38, v11, -v33
	v_fma_f16 v7, v37, v14, -v7
	v_mul_f16_e32 v55, v28, v20
	s_waitcnt lgkmcnt(0)
	v_fma_f16 v43, v34, v52, v53
	v_mul_f16_e32 v31, v31, v52
	v_mul_f16_e32 v27, v27, v40
	v_fma_f16 v40, v24, v41, v54
	v_mul_f16_e32 v28, v28, v51
	v_sub_f16_e32 v14, v30, v44
	v_fma_f16 v10, v39, v10, -v32
	v_fma_f16 v15, v36, v15, -v22
	;; [unrolled: 1-line block ×3, first 2 shown]
	v_mul_f16_e32 v17, 0xbb47, v48
	v_add_f16_e32 v24, v7, v11
	v_lshrrev_b32_e32 v49, 16, v18
	v_lshrrev_b32_e32 v50, 16, v19
	v_mul_f16_e32 v56, v9, v18
	v_mul_f16_e32 v57, v12, v19
	v_fma_f16 v46, v26, v51, v55
	v_sub_f16_e32 v22, v29, v43
	v_fma_f16 v21, v34, v21, -v31
	v_fma_f16 v16, v23, v16, -v27
	;; [unrolled: 1-line block ×3, first 2 shown]
	v_mul_f16_e32 v26, 0xba0c, v14
	v_add_f16_e32 v27, v15, v10
	v_fma_f16 v34, v24, s0, v17
	v_fma_f16 v41, v25, v49, v56
	;; [unrolled: 1-line block ×3, first 2 shown]
	v_sub_f16_e32 v23, v40, v46
	v_mul_f16_e32 v28, 0x3482, v22
	v_add_f16_e32 v31, v16, v21
	v_fma_f16 v36, v27, s1, v26
	v_add_f16_e32 v34, v0, v34
	v_mul_f16_e32 v12, v12, v50
	v_mul_f16_e32 v9, v9, v49
	;; [unrolled: 1-line block ×3, first 2 shown]
	v_add_f16_e32 v33, v13, v20
	v_fma_f16 v37, v31, s2, v28
	v_add_f16_e32 v34, v34, v36
	v_sub_f16_e32 v36, v41, v47
	v_fma_f16 v12, v35, v19, -v12
	v_fma_f16 v9, v25, v18, -v9
	v_fma_f16 v38, v33, s3, v32
	v_add_f16_e32 v34, v34, v37
	v_mul_f16_e32 v37, 0x3853, v36
	v_add_f16_e32 v18, v9, v12
	v_add_f16_e32 v34, v34, v38
	v_fma_f16 v19, v18, s4, v37
	v_add_f16_e32 v19, v34, v19
	v_sub_f16_e32 v34, v7, v11
	v_add_f16_e32 v25, v42, v45
	v_mul_f16_e32 v35, 0xbb47, v34
	v_sub_f16_e32 v49, v15, v10
	v_fma_f16 v38, v25, s0, -v35
	v_add_f16_e32 v39, v30, v44
	v_mul_f16_e32 v50, 0xba0c, v49
	v_add_f16_e32 v38, v8, v38
	v_fma_f16 v51, v39, s1, -v50
	v_sub_f16_e32 v52, v16, v21
	v_add_f16_e32 v38, v38, v51
	v_add_f16_e32 v51, v29, v43
	v_mul_f16_e32 v53, 0x3482, v52
	v_fma_f16 v54, v51, s2, -v53
	v_sub_f16_e32 v55, v13, v20
	v_add_f16_e32 v38, v38, v54
	v_add_f16_e32 v54, v40, v46
	v_mul_f16_e32 v56, 0x3beb, v55
	v_fma_f16 v57, v54, s3, -v56
	v_sub_f16_e32 v58, v9, v12
	v_add_f16_e32 v38, v38, v57
	v_add_f16_e32 v57, v41, v47
	v_mul_f16_e32 v59, 0x3853, v58
	v_fma_f16 v60, v57, s4, -v59
	v_add_f16_e32 v38, v38, v60
	v_mul_f16_e32 v60, 0xbbeb, v48
	v_fma_f16 v61, v24, s3, v60
	v_mul_f16_e32 v62, 0x3482, v14
	v_add_f16_e32 v61, v0, v61
	v_fma_f16 v63, v27, s2, v62
	v_add_f16_e32 v61, v61, v63
	v_mul_f16_e32 v63, 0x3b47, v22
	v_fma_f16 v64, v31, s0, v63
	v_add_f16_e32 v61, v61, v64
	v_mul_f16_e32 v64, 0xb853, v23
	;; [unrolled: 3-line block ×4, first 2 shown]
	v_fma_f16 v67, v25, s3, -v66
	v_mul_f16_e32 v68, 0x3482, v49
	v_add_f16_e32 v67, v8, v67
	v_fma_f16 v69, v39, s2, -v68
	v_add_f16_e32 v67, v67, v69
	v_mul_f16_e32 v69, 0x3b47, v52
	v_fma_f16 v70, v51, s0, -v69
	v_add_f16_e32 v67, v67, v70
	v_mul_f16_e32 v70, 0xb853, v55
	;; [unrolled: 3-line block ×4, first 2 shown]
	v_fma_f16 v73, v24, s1, v72
	v_mul_f16_e32 v74, 0x3beb, v14
	v_add_f16_e32 v73, v0, v73
	v_fma_f16 v75, v27, s3, v74
	v_add_f16_e32 v73, v73, v75
	v_mul_f16_e32 v75, 0xb853, v22
	v_fma_f16 v76, v31, s4, v75
	v_add_f16_e32 v73, v73, v76
	v_mul_f16_e32 v76, 0xb482, v23
	;; [unrolled: 3-line block ×4, first 2 shown]
	v_fma_f16 v79, v25, s1, -v78
	v_mul_f16_e32 v80, 0x3beb, v49
	v_add_f16_e32 v79, v8, v79
	v_fma_f16 v81, v39, s3, -v80
	v_add_f16_e32 v79, v79, v81
	v_mul_f16_e32 v81, 0xb853, v52
	v_fma_f16 v82, v51, s4, -v81
	v_fma_f16 v17, v24, s0, -v17
	v_add_f16_e32 v79, v79, v82
	v_mul_f16_e32 v82, 0xb482, v55
	v_add_f16_e32 v17, v0, v17
	v_fma_f16 v26, v27, s1, -v26
	v_fma_f16 v83, v54, s2, -v82
	v_add_f16_e32 v17, v17, v26
	v_fma_f16 v26, v31, s2, -v28
	v_add_f16_e32 v79, v79, v83
	v_mul_f16_e32 v83, 0x3b47, v58
	v_add_f16_e32 v17, v17, v26
	v_fma_f16 v26, v33, s3, -v32
	v_fma_f16 v84, v57, s0, -v83
	v_add_f16_e32 v17, v17, v26
	v_fma_f16 v26, v18, s4, -v37
	v_add_f16_e32 v79, v79, v84
	v_mul_f16_e32 v84, 0xbbad, v24
	v_add_f16_e32 v17, v17, v26
	v_fma_f16 v26, v25, s0, v35
	v_fma_f16 v85, v48, s5, v84
	v_mul_f16_e32 v86, 0x3abb, v27
	v_add_f16_e32 v26, v8, v26
	v_fma_f16 v28, v39, s1, v50
	v_add_f16_e32 v85, v0, v85
	v_fma_f16 v87, v14, s6, v86
	;; [unrolled: 2-line block ×3, first 2 shown]
	v_add_f16_e32 v7, v7, v0
	v_add_f16_e32 v85, v85, v87
	v_mul_f16_e32 v87, 0xb93d, v31
	v_add_f16_e32 v26, v26, v28
	v_fma_f16 v28, v54, s3, v56
	v_add_f16_e32 v7, v7, v15
	v_fma_f16 v88, v22, s7, v87
	v_fma_f16 v72, v24, s1, -v72
	v_fma_f16 v60, v24, s3, -v60
	v_add_f16_e32 v26, v26, v28
	v_fma_f16 v28, v57, s4, v59
	v_mul_f16_e32 v24, 0x3abb, v24
	v_add_f16_e32 v7, v7, v16
	v_add_f16_e32 v85, v85, v88
	v_mul_f16_e32 v88, 0x36a6, v33
	v_add_f16_e32 v72, v0, v72
	v_fma_f16 v74, v27, s3, -v74
	v_add_f16_e32 v60, v0, v60
	v_fma_f16 v62, v27, s2, -v62
	v_add_f16_e32 v26, v26, v28
	v_fma_f16 v28, v48, s12, v24
	v_mul_f16_e32 v27, 0x36a6, v27
	v_add_f16_e32 v7, v7, v13
	v_fma_f16 v89, v23, s8, v88
	v_add_f16_e32 v72, v72, v74
	v_fma_f16 v74, v31, s4, -v75
	v_add_f16_e32 v60, v60, v62
	v_fma_f16 v62, v31, s0, -v63
	v_add_f16_e32 v28, v0, v28
	v_fma_f16 v32, v14, s13, v27
	v_mul_f16_e32 v31, 0xb08e, v31
	v_add_f16_e32 v7, v7, v9
	v_add_f16_e32 v85, v85, v89
	v_mul_f16_e32 v89, 0xb08e, v18
	v_add_f16_e32 v28, v28, v32
	v_fma_f16 v32, v22, s9, v31
	v_add_f16_e32 v7, v7, v12
	v_fma_f16 v90, v36, s9, v89
	v_add_f16_e32 v72, v72, v74
	v_fma_f16 v74, v33, s2, -v76
	v_add_f16_e32 v60, v60, v62
	v_fma_f16 v62, v33, s4, -v64
	v_add_f16_e32 v28, v28, v32
	v_mul_f16_e32 v32, 0xb93d, v33
	s_mov_b32 s9, 0xb482
	v_add_f16_e32 v7, v20, v7
	v_add_f16_e32 v72, v72, v74
	v_fma_f16 v74, v18, s0, -v77
	v_add_f16_e32 v60, v60, v62
	v_fma_f16 v62, v18, s1, -v65
	v_fma_f16 v33, v23, s7, v32
	v_mul_f16_e32 v18, 0xbbad, v18
	v_add_f16_e32 v7, v21, v7
	v_fma_f16 v9, v48, s9, v84
	v_add_f16_e32 v85, v85, v90
	v_mul_f16_e32 v90, 0xb482, v34
	v_add_f16_e32 v28, v28, v33
	v_fma_f16 v33, v36, s5, v18
	s_mov_b32 s5, 0xba0c
	v_add_f16_e32 v7, v10, v7
	v_add_f16_e32 v9, v0, v9
	v_fma_f16 v10, v14, s12, v86
	v_fma_f16 v91, v25, s2, v90
	v_mul_f16_e32 v92, 0x3853, v49
	v_add_f16_e32 v9, v9, v10
	v_fma_f16 v10, v22, s5, v87
	v_add_f16_e32 v91, v8, v91
	v_fma_f16 v93, v39, s4, v92
	s_mov_b32 s7, 0xbbeb
	v_add_f16_e32 v9, v9, v10
	v_fma_f16 v10, v23, s13, v88
	v_add_f16_e32 v91, v91, v93
	v_mul_f16_e32 v93, 0xba0c, v52
	v_add_f16_e32 v9, v9, v10
	v_fma_f16 v10, v36, s7, v89
	v_fma_f16 v94, v51, s1, v93
	v_add_f16_e32 v9, v9, v10
	v_fma_f16 v10, v25, s2, -v90
	v_add_f16_e32 v91, v91, v94
	v_mul_f16_e32 v94, 0x3b47, v55
	v_add_f16_e32 v7, v11, v7
	v_add_f16_e32 v10, v8, v10
	v_fma_f16 v11, v39, s4, -v92
	v_fma_f16 v95, v54, s0, v94
	v_add_f16_e32 v10, v10, v11
	v_fma_f16 v11, v51, s1, -v93
	v_add_f16_e32 v91, v91, v95
	v_mul_f16_e32 v95, 0xbbeb, v58
	v_add_f16_e32 v10, v10, v11
	v_fma_f16 v11, v54, s0, -v94
	v_add_f16_e32 v10, v10, v11
	v_fma_f16 v11, v57, s3, -v95
	v_add_f16_e32 v10, v10, v11
	v_fma_f16 v11, v48, s6, v24
	v_add_f16_e32 v28, v28, v33
	v_mul_f16_e32 v33, 0xb853, v34
	v_add_f16_e32 v0, v0, v11
	v_fma_f16 v11, v14, s8, v27
	v_fma_f16 v34, v25, s4, v33
	v_mul_f16_e32 v35, 0xbb47, v49
	v_add_f16_e32 v0, v0, v11
	v_fma_f16 v11, v22, s7, v31
	v_add_f16_e32 v34, v8, v34
	v_fma_f16 v37, v39, s0, v35
	;; [unrolled: 2-line block ×3, first 2 shown]
	v_add_f16_e32 v34, v34, v37
	v_mul_f16_e32 v37, 0xbbeb, v52
	v_add_f16_e32 v0, v0, v11
	v_fma_f16 v11, v36, s9, v18
	v_add_f16_e32 v72, v72, v74
	v_fma_f16 v74, v25, s1, v78
	v_add_f16_e32 v60, v60, v62
	v_fma_f16 v62, v25, s3, v66
	v_fma_f16 v49, v51, s3, v37
	v_add_f16_e32 v11, v0, v11
	v_fma_f16 v0, v25, s4, -v33
	v_add_f16_e32 v74, v8, v74
	v_add_f16_e32 v62, v8, v62
	;; [unrolled: 1-line block ×3, first 2 shown]
	v_mul_f16_e32 v49, 0xba0c, v55
	v_add_f16_e32 v42, v8, v42
	v_add_f16_e32 v0, v8, v0
	v_fma_f16 v8, v39, s0, -v35
	v_fma_f16 v50, v54, s1, v49
	v_add_f16_e32 v0, v0, v8
	v_fma_f16 v8, v51, s3, -v37
	v_add_f16_e32 v34, v34, v50
	v_mul_f16_e32 v50, 0xb482, v58
	v_add_f16_e32 v30, v42, v30
	v_add_f16_e32 v0, v0, v8
	v_fma_f16 v8, v54, s1, -v49
	v_add_f16_e32 v29, v30, v29
	v_add_f16_e32 v0, v0, v8
	v_fma_f16 v8, v57, s2, -v50
	v_add_f16_e32 v29, v29, v40
	v_add_f16_e32 v8, v0, v8
	v_mov_b32_e32 v0, s11
	v_add_f16_e32 v29, v29, v41
	v_addc_co_u32_e32 v6, vcc, v0, v6, vcc
	v_lshlrev_b64 v[0:1], 2, v[1:2]
	v_add_f16_e32 v29, v29, v47
	v_add_f16_e32 v29, v46, v29
	v_add_co_u32_e32 v2, vcc, v5, v0
	v_add_f16_e32 v29, v43, v29
	v_addc_co_u32_e32 v5, vcc, v6, v1, vcc
	v_lshlrev_b64 v[0:1], 2, v[3:4]
	v_fma_f16 v63, v39, s2, v68
	v_add_f16_e32 v29, v44, v29
	v_fma_f16 v75, v39, s3, v80
	v_add_f16_e32 v62, v62, v63
	v_fma_f16 v63, v51, s0, v69
	v_fma_f16 v52, v57, s2, v50
	v_add_f16_e32 v29, v45, v29
	v_add_co_u32_e32 v0, vcc, v2, v0
	v_add_f16_e32 v74, v74, v75
	v_fma_f16 v75, v51, s4, v81
	v_add_f16_e32 v62, v62, v63
	v_fma_f16 v63, v54, s4, v70
	v_add_f16_e32 v34, v34, v52
	v_addc_co_u32_e32 v1, vcc, v5, v1, vcc
	v_pack_b32_f16 v2, v29, v7
	v_add_f16_e32 v74, v74, v75
	v_fma_f16 v75, v54, s2, v82
	v_add_f16_e32 v62, v62, v63
	v_fma_f16 v63, v57, s1, v71
	global_store_dword v[0:1], v2, off
	v_pack_b32_f16 v2, v34, v28
	v_add_f16_e32 v74, v74, v75
	v_fma_f16 v75, v57, s0, v83
	v_add_f16_e32 v62, v62, v63
	global_store_dword v[0:1], v2, off offset:308
	v_pack_b32_f16 v2, v26, v17
	v_fma_f16 v96, v57, s3, v95
	v_add_f16_e32 v74, v74, v75
	global_store_dword v[0:1], v2, off offset:616
	v_pack_b32_f16 v2, v62, v60
	v_add_f16_e32 v91, v91, v96
	global_store_dword v[0:1], v2, off offset:924
	v_pack_b32_f16 v2, v74, v72
	global_store_dword v[0:1], v2, off offset:1232
	v_pack_b32_f16 v2, v91, v85
	;; [unrolled: 2-line block ×7, first 2 shown]
	global_store_dword v[0:1], v2, off offset:3080
.LBB0_22:
	s_endpgm
	.section	.rodata,"a",@progbits
	.p2align	6, 0x0
	.amdhsa_kernel fft_rtc_back_len847_factors_11_7_11_wgs_231_tpt_77_halfLds_half_op_CI_CI_unitstride_sbrr_dirReg
		.amdhsa_group_segment_fixed_size 0
		.amdhsa_private_segment_fixed_size 0
		.amdhsa_kernarg_size 104
		.amdhsa_user_sgpr_count 6
		.amdhsa_user_sgpr_private_segment_buffer 1
		.amdhsa_user_sgpr_dispatch_ptr 0
		.amdhsa_user_sgpr_queue_ptr 0
		.amdhsa_user_sgpr_kernarg_segment_ptr 1
		.amdhsa_user_sgpr_dispatch_id 0
		.amdhsa_user_sgpr_flat_scratch_init 0
		.amdhsa_user_sgpr_private_segment_size 0
		.amdhsa_uses_dynamic_stack 0
		.amdhsa_system_sgpr_private_segment_wavefront_offset 0
		.amdhsa_system_sgpr_workgroup_id_x 1
		.amdhsa_system_sgpr_workgroup_id_y 0
		.amdhsa_system_sgpr_workgroup_id_z 0
		.amdhsa_system_sgpr_workgroup_info 0
		.amdhsa_system_vgpr_workitem_id 0
		.amdhsa_next_free_vgpr 97
		.amdhsa_next_free_sgpr 37
		.amdhsa_reserve_vcc 1
		.amdhsa_reserve_flat_scratch 0
		.amdhsa_float_round_mode_32 0
		.amdhsa_float_round_mode_16_64 0
		.amdhsa_float_denorm_mode_32 3
		.amdhsa_float_denorm_mode_16_64 3
		.amdhsa_dx10_clamp 1
		.amdhsa_ieee_mode 1
		.amdhsa_fp16_overflow 0
		.amdhsa_exception_fp_ieee_invalid_op 0
		.amdhsa_exception_fp_denorm_src 0
		.amdhsa_exception_fp_ieee_div_zero 0
		.amdhsa_exception_fp_ieee_overflow 0
		.amdhsa_exception_fp_ieee_underflow 0
		.amdhsa_exception_fp_ieee_inexact 0
		.amdhsa_exception_int_div_zero 0
	.end_amdhsa_kernel
	.text
.Lfunc_end0:
	.size	fft_rtc_back_len847_factors_11_7_11_wgs_231_tpt_77_halfLds_half_op_CI_CI_unitstride_sbrr_dirReg, .Lfunc_end0-fft_rtc_back_len847_factors_11_7_11_wgs_231_tpt_77_halfLds_half_op_CI_CI_unitstride_sbrr_dirReg
                                        ; -- End function
	.section	.AMDGPU.csdata,"",@progbits
; Kernel info:
; codeLenInByte = 8380
; NumSgprs: 41
; NumVgprs: 97
; ScratchSize: 0
; MemoryBound: 0
; FloatMode: 240
; IeeeMode: 1
; LDSByteSize: 0 bytes/workgroup (compile time only)
; SGPRBlocks: 5
; VGPRBlocks: 24
; NumSGPRsForWavesPerEU: 41
; NumVGPRsForWavesPerEU: 97
; Occupancy: 2
; WaveLimiterHint : 1
; COMPUTE_PGM_RSRC2:SCRATCH_EN: 0
; COMPUTE_PGM_RSRC2:USER_SGPR: 6
; COMPUTE_PGM_RSRC2:TRAP_HANDLER: 0
; COMPUTE_PGM_RSRC2:TGID_X_EN: 1
; COMPUTE_PGM_RSRC2:TGID_Y_EN: 0
; COMPUTE_PGM_RSRC2:TGID_Z_EN: 0
; COMPUTE_PGM_RSRC2:TIDIG_COMP_CNT: 0
	.type	__hip_cuid_79f728dd77679323,@object ; @__hip_cuid_79f728dd77679323
	.section	.bss,"aw",@nobits
	.globl	__hip_cuid_79f728dd77679323
__hip_cuid_79f728dd77679323:
	.byte	0                               ; 0x0
	.size	__hip_cuid_79f728dd77679323, 1

	.ident	"AMD clang version 19.0.0git (https://github.com/RadeonOpenCompute/llvm-project roc-6.4.0 25133 c7fe45cf4b819c5991fe208aaa96edf142730f1d)"
	.section	".note.GNU-stack","",@progbits
	.addrsig
	.addrsig_sym __hip_cuid_79f728dd77679323
	.amdgpu_metadata
---
amdhsa.kernels:
  - .args:
      - .actual_access:  read_only
        .address_space:  global
        .offset:         0
        .size:           8
        .value_kind:     global_buffer
      - .offset:         8
        .size:           8
        .value_kind:     by_value
      - .actual_access:  read_only
        .address_space:  global
        .offset:         16
        .size:           8
        .value_kind:     global_buffer
      - .actual_access:  read_only
        .address_space:  global
        .offset:         24
        .size:           8
        .value_kind:     global_buffer
      - .actual_access:  read_only
        .address_space:  global
        .offset:         32
        .size:           8
        .value_kind:     global_buffer
      - .offset:         40
        .size:           8
        .value_kind:     by_value
      - .actual_access:  read_only
        .address_space:  global
        .offset:         48
        .size:           8
        .value_kind:     global_buffer
      - .actual_access:  read_only
        .address_space:  global
        .offset:         56
        .size:           8
        .value_kind:     global_buffer
      - .offset:         64
        .size:           4
        .value_kind:     by_value
      - .actual_access:  read_only
        .address_space:  global
        .offset:         72
        .size:           8
        .value_kind:     global_buffer
      - .actual_access:  read_only
        .address_space:  global
        .offset:         80
        .size:           8
        .value_kind:     global_buffer
      - .actual_access:  read_only
        .address_space:  global
        .offset:         88
        .size:           8
        .value_kind:     global_buffer
      - .actual_access:  write_only
        .address_space:  global
        .offset:         96
        .size:           8
        .value_kind:     global_buffer
    .group_segment_fixed_size: 0
    .kernarg_segment_align: 8
    .kernarg_segment_size: 104
    .language:       OpenCL C
    .language_version:
      - 2
      - 0
    .max_flat_workgroup_size: 231
    .name:           fft_rtc_back_len847_factors_11_7_11_wgs_231_tpt_77_halfLds_half_op_CI_CI_unitstride_sbrr_dirReg
    .private_segment_fixed_size: 0
    .sgpr_count:     41
    .sgpr_spill_count: 0
    .symbol:         fft_rtc_back_len847_factors_11_7_11_wgs_231_tpt_77_halfLds_half_op_CI_CI_unitstride_sbrr_dirReg.kd
    .uniform_work_group_size: 1
    .uses_dynamic_stack: false
    .vgpr_count:     97
    .vgpr_spill_count: 0
    .wavefront_size: 64
amdhsa.target:   amdgcn-amd-amdhsa--gfx906
amdhsa.version:
  - 1
  - 2
...

	.end_amdgpu_metadata
